;; amdgpu-corpus repo=ROCm/rocFFT kind=compiled arch=gfx1201 opt=O3
	.text
	.amdgcn_target "amdgcn-amd-amdhsa--gfx1201"
	.amdhsa_code_object_version 6
	.protected	fft_rtc_back_len64_factors_4_4_4_wgs_128_tpt_16_sp_op_CI_CI_sbrc_erc_z_xy_unaligned ; -- Begin function fft_rtc_back_len64_factors_4_4_4_wgs_128_tpt_16_sp_op_CI_CI_sbrc_erc_z_xy_unaligned
	.globl	fft_rtc_back_len64_factors_4_4_4_wgs_128_tpt_16_sp_op_CI_CI_sbrc_erc_z_xy_unaligned
	.p2align	8
	.type	fft_rtc_back_len64_factors_4_4_4_wgs_128_tpt_16_sp_op_CI_CI_sbrc_erc_z_xy_unaligned,@function
fft_rtc_back_len64_factors_4_4_4_wgs_128_tpt_16_sp_op_CI_CI_sbrc_erc_z_xy_unaligned: ; @fft_rtc_back_len64_factors_4_4_4_wgs_128_tpt_16_sp_op_CI_CI_sbrc_erc_z_xy_unaligned
; %bb.0:
	s_clause 0x1
	s_load_b256 s[4:11], s[0:1], 0x0
	s_load_b64 s[20:21], s[0:1], 0x20
	v_and_b32_e32 v2, 63, v0
	s_wait_kmcnt 0x0
	s_load_b128 s[12:15], s[8:9], 0x8
	s_load_b32 s28, s[10:11], 0x10
	s_wait_kmcnt 0x0
	s_add_co_i32 s2, s12, -1
	s_delay_alu instid0(SALU_CYCLE_1) | instskip(NEXT) | instid1(SALU_CYCLE_1)
	s_lshr_b32 s2, s2, 3
	s_add_co_i32 s3, s2, 1
	s_delay_alu instid0(SALU_CYCLE_1) | instskip(SKIP_3) | instid1(SALU_CYCLE_2)
	s_mul_i32 s8, s3, s14
	s_cvt_f32_u32 s13, s3
	s_cvt_f32_u32 s9, s8
	s_sub_co_i32 s14, 0, s8
	v_rcp_iflag_f32_e32 v1, s9
	s_delay_alu instid0(TRANS32_DEP_1) | instskip(SKIP_1) | instid1(VALU_DEP_1)
	v_readfirstlane_b32 s9, v1
	v_rcp_iflag_f32_e32 v1, s13
	s_mul_f32 s9, s9, 0x4f7ffffe
	s_wait_alu 0xfffe
	s_delay_alu instid0(SALU_CYCLE_2) | instskip(SKIP_1) | instid1(SALU_CYCLE_2)
	s_cvt_u32_f32 s9, s9
	s_wait_alu 0xfffe
	s_mul_i32 s14, s14, s9
	s_delay_alu instid0(SALU_CYCLE_1) | instskip(NEXT) | instid1(TRANS32_DEP_1)
	s_mul_hi_u32 s13, s9, s14
	v_readfirstlane_b32 s14, v1
	s_wait_alu 0xfffe
	s_add_co_i32 s9, s9, s13
	v_lshrrev_b32_e32 v1, 6, v0
	s_wait_alu 0xfffe
	s_mul_hi_u32 s9, ttmp9, s9
	s_mul_f32 s14, s14, 0x4f7ffffe
	s_wait_alu 0xfffe
	s_mul_i32 s13, s9, s8
	s_add_co_i32 s15, s9, 1
	s_wait_alu 0xfffe
	s_sub_co_i32 s13, ttmp9, s13
	s_wait_alu 0xfffe
	s_sub_co_i32 s16, s13, s8
	s_cmp_ge_u32 s13, s8
	s_cselect_b32 s9, s15, s9
	s_cselect_b32 s13, s16, s13
	s_load_b128 s[16:19], s[10:11], 0x0
	s_add_co_i32 s15, s9, 1
	s_cmp_ge_u32 s13, s8
	s_cvt_u32_f32 s13, s14
	s_cselect_b32 s14, s15, s9
	s_not_b32 s2, s2
	s_mul_i32 s8, s14, s8
	s_wait_alu 0xfffe
	s_mul_i32 s2, s2, s13
	s_sub_co_i32 s8, ttmp9, s8
	s_mul_hi_u32 s2, s13, s2
	s_delay_alu instid0(SALU_CYCLE_1)
	s_add_co_i32 s13, s13, s2
	s_wait_alu 0xfffe
	s_mul_hi_u32 s2, s8, s13
	s_mul_hi_u32 s13, ttmp9, s13
	s_mul_i32 s9, s2, s3
	s_wait_alu 0xfffe
	s_sub_co_i32 s8, s8, s9
	s_add_co_i32 s9, s2, 1
	s_wait_alu 0xfffe
	s_sub_co_i32 s15, s8, s3
	s_cmp_ge_u32 s8, s3
	s_cselect_b32 s2, s9, s2
	s_cselect_b32 s8, s15, s8
	s_add_co_i32 s9, s2, 1
	s_wait_alu 0xfffe
	s_cmp_ge_u32 s8, s3
	s_mul_i32 s8, s13, s3
	s_cselect_b32 s13, s9, s2
	s_wait_alu 0xfffe
	s_sub_co_i32 s2, ttmp9, s8
	s_mov_b32 s15, 0
	s_sub_co_i32 s8, s2, s3
	s_cmp_ge_u32 s2, s3
	s_mov_b32 s29, s15
	s_wait_alu 0xfffe
	s_cselect_b32 s2, s8, s2
	s_delay_alu instid0(SALU_CYCLE_1)
	s_sub_co_i32 s8, s2, s3
	s_cmp_ge_u32 s2, s3
	s_wait_kmcnt 0x0
	s_wait_alu 0xfffe
	s_cselect_b32 s19, s8, s2
	s_lshl_b64 s[24:25], s[6:7], 3
	s_lshl_b32 s6, s19, 3
	s_add_nc_u64 s[2:3], s[10:11], s[24:25]
	s_load_b64 s[26:27], s[2:3], 0x0
	s_load_b64 s[22:23], s[0:1], 0x58
	s_clause 0x1
	s_load_b128 s[8:11], s[20:21], 0x0
	s_load_b64 s[2:3], s[20:21], 0x10
	s_wait_kmcnt 0x0
	s_mul_i32 s3, s13, s28
	s_mul_i32 s11, s6, s18
	s_add_co_i32 s19, s6, 8
	s_add_co_i32 s28, s11, s3
	s_cmp_le_u32 s19, s12
	s_add_nc_u64 s[20:21], s[20:21], s[24:25]
	s_cselect_b32 s3, -1, 0
	s_mov_b32 s7, -1
	s_and_b32 vcc_lo, exec_lo, s3
	s_mul_u64 s[24:25], s[26:27], s[14:15]
	s_delay_alu instid0(SALU_CYCLE_1)
	s_add_nc_u64 s[24:25], s[24:25], s[28:29]
	s_cbranch_vccz .LBB0_2
; %bb.1:
	v_mad_co_u64_u32 v[3:4], null, s16, v2, 0
	v_mul_lo_u32 v5, v1, s18
	s_lshl_b32 s7, s18, 1
	v_mov_b32_e32 v6, 0
	s_lshl_b64 s[26:27], s[24:25], 3
	s_delay_alu instid0(SALU_CYCLE_1) | instskip(NEXT) | instid1(VALU_DEP_2)
	s_add_nc_u64 s[26:27], s[22:23], s[26:27]
	v_mad_co_u64_u32 v[7:8], null, s17, v2, v[4:5]
	s_delay_alu instid0(VALU_DEP_2) | instskip(SKIP_1) | instid1(VALU_DEP_1)
	v_lshlrev_b64_e32 v[8:9], 3, v[5:6]
	v_add_nc_u32_e32 v5, s7, v5
	v_lshlrev_b64_e32 v[10:11], 3, v[5:6]
	s_delay_alu instid0(VALU_DEP_4) | instskip(NEXT) | instid1(VALU_DEP_1)
	v_dual_mov_b32 v4, v7 :: v_dual_add_nc_u32 v5, s7, v5
	v_lshlrev_b64_e32 v[3:4], 3, v[3:4]
	s_delay_alu instid0(VALU_DEP_2) | instskip(SKIP_2) | instid1(VALU_DEP_3)
	v_lshlrev_b64_e32 v[12:13], 3, v[5:6]
	v_add_nc_u32_e32 v5, s7, v5
	s_mov_b32 s7, s15
	v_add_co_u32 v14, vcc_lo, s26, v3
	s_delay_alu instid0(VALU_DEP_4) | instskip(NEXT) | instid1(VALU_DEP_3)
	v_add_co_ci_u32_e32 v15, vcc_lo, s27, v4, vcc_lo
	v_lshlrev_b64_e32 v[3:4], 3, v[5:6]
	s_delay_alu instid0(VALU_DEP_3) | instskip(SKIP_1) | instid1(VALU_DEP_3)
	v_add_co_u32 v5, vcc_lo, v14, v8
	s_wait_alu 0xfffd
	v_add_co_ci_u32_e32 v6, vcc_lo, v15, v9, vcc_lo
	v_add_co_u32 v7, vcc_lo, v14, v10
	s_wait_alu 0xfffd
	v_add_co_ci_u32_e32 v8, vcc_lo, v15, v11, vcc_lo
	;; [unrolled: 3-line block ×4, first 2 shown]
	s_clause 0x3
	global_load_b64 v[5:6], v[5:6], off
	global_load_b64 v[7:8], v[7:8], off
	;; [unrolled: 1-line block ×4, first 2 shown]
	v_lshlrev_b32_e32 v11, 3, v2
	v_mul_u32_u24_e32 v12, 0x208, v1
	s_delay_alu instid0(VALU_DEP_1) | instskip(NEXT) | instid1(VALU_DEP_1)
	v_add3_u32 v11, 0, v11, v12
	v_add_nc_u32_e32 v12, 0x800, v11
	s_wait_loadcnt 0x2
	ds_store_2addr_b64 v11, v[5:6], v[7:8] offset1:130
	s_wait_loadcnt 0x0
	ds_store_2addr_b64 v12, v[9:10], v[3:4] offset0:4 offset1:134
.LBB0_2:
	s_load_b64 s[20:21], s[20:21], 0x0
	s_and_not1_b32 vcc_lo, exec_lo, s7
	s_wait_alu 0xfffe
	s_cbranch_vccnz .LBB0_7
; %bb.3:
	v_add_nc_u32_e32 v3, s6, v1
	s_mov_b32 s7, exec_lo
	s_delay_alu instid0(VALU_DEP_1)
	v_cmpx_gt_u32_e64 s12, v3
	s_cbranch_execz .LBB0_6
; %bb.4:
	v_mad_co_u64_u32 v[4:5], null, s16, v2, 0
	v_mul_u32_u24_e32 v7, 0x208, v1
	v_mul_lo_u32 v1, v1, s18
	s_mov_b32 s11, 0
	s_delay_alu instid0(VALU_DEP_3) | instskip(SKIP_4) | instid1(VALU_DEP_2)
	v_mad_co_u64_u32 v[5:6], null, s17, v2, v[5:6]
	s_lshl_b64 s[16:17], s[24:25], 3
	v_lshlrev_b32_e32 v2, 3, v2
	s_wait_alu 0xfffe
	s_add_nc_u64 s[16:17], s[22:23], s[16:17]
	v_lshlrev_b64_e32 v[5:6], 3, v[4:5]
	s_delay_alu instid0(VALU_DEP_2) | instskip(SKIP_2) | instid1(VALU_DEP_3)
	v_add3_u32 v4, v7, v2, 0
	v_mov_b32_e32 v2, 0
	s_wait_alu 0xfffe
	v_add_co_u32 v5, vcc_lo, s16, v5
	s_wait_alu 0xfffd
	v_add_co_ci_u32_e32 v6, vcc_lo, s17, v6, vcc_lo
	s_lshl_b32 s16, s18, 1
.LBB0_5:                                ; =>This Inner Loop Header: Depth=1
	v_lshlrev_b64_e32 v[7:8], 3, v[1:2]
	v_add_nc_u32_e32 v3, 2, v3
	s_wait_alu 0xfffe
	v_add_nc_u32_e32 v1, s16, v1
	s_delay_alu instid0(VALU_DEP_3)
	v_add_co_u32 v7, vcc_lo, v5, v7
	s_wait_alu 0xfffd
	v_add_co_ci_u32_e32 v8, vcc_lo, v6, v8, vcc_lo
	v_cmp_le_u32_e32 vcc_lo, s12, v3
	global_load_b64 v[7:8], v[7:8], off
	s_or_b32 s11, vcc_lo, s11
	s_wait_loadcnt 0x0
	ds_store_b64 v4, v[7:8]
	v_add_nc_u32_e32 v4, 0x410, v4
	s_and_not1_b32 exec_lo, exec_lo, s11
	s_cbranch_execnz .LBB0_5
.LBB0_6:
	s_wait_alu 0xfffe
	s_or_b32 exec_lo, exec_lo, s7
.LBB0_7:
	v_lshrrev_b32_e32 v1, 4, v0
	v_and_b32_e32 v15, 15, v0
	global_wb scope:SCOPE_SE
	s_wait_dscnt 0x0
	s_wait_kmcnt 0x0
	s_barrier_signal -1
	s_barrier_wait -1
	v_mul_u32_u24_e32 v1, 0x41, v1
	v_lshlrev_b32_e32 v2, 3, v15
	global_inv scope:SCOPE_SE
	s_load_b64 s[0:1], s[0:1], 0x60
	s_and_not1_b32 vcc_lo, exec_lo, s3
	v_lshlrev_b32_e32 v1, 3, v1
	s_delay_alu instid0(VALU_DEP_1) | instskip(SKIP_1) | instid1(VALU_DEP_2)
	v_add_nc_u32_e32 v16, 0, v1
	v_add3_u32 v17, 0, v2, v1
	v_add_nc_u32_e32 v18, v16, v2
	ds_load_2addr_b64 v[1:4], v17 offset0:16 offset1:32
	ds_load_b64 v[5:6], v18
	ds_load_b64 v[7:8], v17 offset:384
	global_wb scope:SCOPE_SE
	s_wait_dscnt 0x0
	s_wait_kmcnt 0x0
	s_barrier_signal -1
	s_barrier_wait -1
	global_inv scope:SCOPE_SE
	v_sub_f32_e32 v9, v5, v3
	v_dual_sub_f32 v3, v1, v7 :: v_dual_sub_f32 v10, v6, v4
	v_sub_f32_e32 v4, v2, v8
	s_delay_alu instid0(VALU_DEP_3) | instskip(NEXT) | instid1(VALU_DEP_3)
	v_fma_f32 v8, v5, 2.0, -v9
	v_fma_f32 v5, v1, 2.0, -v3
	s_delay_alu instid0(VALU_DEP_4) | instskip(NEXT) | instid1(VALU_DEP_4)
	v_fma_f32 v11, v6, 2.0, -v10
	v_fma_f32 v6, v2, 2.0, -v4
	v_dual_sub_f32 v2, v10, v3 :: v_dual_and_b32 v19, 3, v0
	s_delay_alu instid0(VALU_DEP_4) | instskip(NEXT) | instid1(VALU_DEP_3)
	v_sub_f32_e32 v3, v8, v5
	v_dual_add_f32 v1, v9, v4 :: v_dual_sub_f32 v4, v11, v6
	s_delay_alu instid0(VALU_DEP_3) | instskip(SKIP_2) | instid1(VALU_DEP_4)
	v_mul_u32_u24_e32 v7, 3, v19
	v_mad_u32_u24 v13, v15, 24, v17
	v_fma_f32 v6, v10, 2.0, -v2
	v_fma_f32 v5, v9, 2.0, -v1
	s_delay_alu instid0(VALU_DEP_4)
	v_lshlrev_b32_e32 v12, 3, v7
	v_fma_f32 v7, v8, 2.0, -v3
	v_fma_f32 v8, v11, 2.0, -v4
	ds_store_2addr_b64 v13, v[7:8], v[5:6] offset1:1
	ds_store_2addr_b64 v13, v[3:4], v[1:2] offset0:2 offset1:3
	global_wb scope:SCOPE_SE
	s_wait_dscnt 0x0
	s_barrier_signal -1
	s_barrier_wait -1
	global_inv scope:SCOPE_SE
	s_clause 0x1
	global_load_b128 v[1:4], v12, s[4:5]
	global_load_b64 v[9:10], v12, s[4:5] offset:16
	ds_load_2addr_b64 v[5:8], v17 offset0:16 offset1:32
	ds_load_b64 v[11:12], v17 offset:384
	ds_load_b64 v[13:14], v18
	global_wb scope:SCOPE_SE
	s_wait_loadcnt_dscnt 0x0
	s_barrier_signal -1
	s_barrier_wait -1
	global_inv scope:SCOPE_SE
	v_mul_f32_e32 v21, v4, v8
	v_lshlrev_b32_e32 v20, 2, v0
	v_mul_f32_e32 v4, v4, v7
	s_delay_alu instid0(VALU_DEP_3) | instskip(NEXT) | instid1(VALU_DEP_3)
	v_fmac_f32_e32 v21, v3, v7
	v_and_or_b32 v19, v20, 48, v19
	v_mul_f32_e32 v20, v2, v6
	v_mul_f32_e32 v2, v2, v5
	s_delay_alu instid0(VALU_DEP_2) | instskip(NEXT) | instid1(VALU_DEP_2)
	v_fmac_f32_e32 v20, v1, v5
	v_fma_f32 v1, v1, v6, -v2
	v_fma_f32 v2, v3, v8, -v4
	v_mul_u32_u24_e32 v4, 3, v15
	v_dual_sub_f32 v5, v13, v21 :: v_dual_mul_f32 v22, v10, v12
	v_mul_f32_e32 v10, v10, v11
	s_delay_alu instid0(VALU_DEP_4) | instskip(NEXT) | instid1(VALU_DEP_3)
	v_sub_f32_e32 v6, v14, v2
	v_fma_f32 v7, v13, 2.0, -v5
	s_delay_alu instid0(VALU_DEP_3) | instskip(NEXT) | instid1(VALU_DEP_3)
	v_fma_f32 v3, v9, v12, -v10
	v_fma_f32 v8, v14, 2.0, -v6
	s_delay_alu instid0(VALU_DEP_2) | instskip(NEXT) | instid1(VALU_DEP_1)
	v_sub_f32_e32 v3, v1, v3
	v_fma_f32 v10, v1, 2.0, -v3
	v_add_f32_e32 v1, v5, v3
	v_dual_fmac_f32 v22, v9, v11 :: v_dual_lshlrev_b32 v9, 3, v4
	v_lshl_add_u32 v11, v19, 3, v16
	s_delay_alu instid0(VALU_DEP_3) | instskip(NEXT) | instid1(VALU_DEP_3)
	v_fma_f32 v5, v5, 2.0, -v1
	v_sub_f32_e32 v2, v20, v22
	s_delay_alu instid0(VALU_DEP_1) | instskip(NEXT) | instid1(VALU_DEP_1)
	v_fma_f32 v4, v20, 2.0, -v2
	v_dual_sub_f32 v2, v6, v2 :: v_dual_sub_f32 v3, v7, v4
	v_sub_f32_e32 v4, v8, v10
	s_delay_alu instid0(VALU_DEP_2) | instskip(NEXT) | instid1(VALU_DEP_3)
	v_fma_f32 v6, v6, 2.0, -v2
	v_fma_f32 v7, v7, 2.0, -v3
	s_delay_alu instid0(VALU_DEP_3)
	v_fma_f32 v8, v8, 2.0, -v4
	ds_store_2addr_b64 v11, v[3:4], v[1:2] offset0:8 offset1:12
	ds_store_2addr_b64 v11, v[7:8], v[5:6] offset1:4
	global_wb scope:SCOPE_SE
	s_wait_dscnt 0x0
	s_barrier_signal -1
	s_barrier_wait -1
	global_inv scope:SCOPE_SE
	s_clause 0x1
	global_load_b128 v[1:4], v9, s[4:5] offset:96
	global_load_b64 v[5:6], v9, s[4:5] offset:112
	ds_load_2addr_b64 v[9:12], v17 offset0:16 offset1:32
	ds_load_b64 v[13:14], v17 offset:384
	ds_load_b64 v[15:16], v18
	s_mov_b32 s5, 0
	s_mul_i32 s4, s13, s10
	s_mov_b32 s7, s5
	s_mul_u64 s[10:11], s[20:21], s[14:15]
	s_wait_alu 0xfffe
	s_mul_u64 s[14:15], s[8:9], s[6:7]
	v_lshrrev_b32_e32 v7, 3, v0
	v_and_b32_e32 v8, 7, v0
	s_add_nc_u64 s[14:15], s[14:15], s[4:5]
	global_wb scope:SCOPE_SE
	s_wait_loadcnt_dscnt 0x0
	s_add_nc_u64 s[10:11], s[14:15], s[10:11]
	s_barrier_signal -1
	s_barrier_wait -1
	global_inv scope:SCOPE_SE
	v_mul_f32_e32 v18, v2, v10
	v_dual_mul_f32 v2, v2, v9 :: v_dual_mul_f32 v19, v4, v12
	v_mul_f32_e32 v4, v4, v11
	v_mul_f32_e32 v20, v6, v14
	;; [unrolled: 1-line block ×3, first 2 shown]
	v_fmac_f32_e32 v18, v1, v9
	v_fma_f32 v1, v1, v10, -v2
	v_fmac_f32_e32 v19, v3, v11
	v_fma_f32 v2, v3, v12, -v4
	;; [unrolled: 2-line block ×3, first 2 shown]
	s_delay_alu instid0(VALU_DEP_3) | instskip(NEXT) | instid1(VALU_DEP_2)
	v_dual_sub_f32 v5, v15, v19 :: v_dual_sub_f32 v6, v16, v2
	v_dual_sub_f32 v2, v18, v20 :: v_dual_sub_f32 v3, v1, v3
	s_delay_alu instid0(VALU_DEP_2) | instskip(NEXT) | instid1(VALU_DEP_3)
	v_fma_f32 v9, v15, 2.0, -v5
	v_fma_f32 v10, v16, 2.0, -v6
	s_delay_alu instid0(VALU_DEP_3) | instskip(NEXT) | instid1(VALU_DEP_4)
	v_fma_f32 v4, v18, 2.0, -v2
	v_fma_f32 v11, v1, 2.0, -v3
	v_dual_add_f32 v1, v5, v3 :: v_dual_sub_f32 v2, v6, v2
	s_delay_alu instid0(VALU_DEP_2) | instskip(NEXT) | instid1(VALU_DEP_2)
	v_dual_sub_f32 v3, v9, v4 :: v_dual_sub_f32 v4, v10, v11
	v_fma_f32 v5, v5, 2.0, -v1
	s_delay_alu instid0(VALU_DEP_3) | instskip(NEXT) | instid1(VALU_DEP_3)
	v_fma_f32 v6, v6, 2.0, -v2
	v_fma_f32 v9, v9, 2.0, -v3
	s_delay_alu instid0(VALU_DEP_4)
	v_fma_f32 v10, v10, 2.0, -v4
	ds_store_2addr_b64 v17, v[3:4], v[1:2] offset0:32 offset1:48
	ds_store_2addr_b64 v17, v[9:10], v[5:6] offset1:16
	global_wb scope:SCOPE_SE
	s_wait_dscnt 0x0
	s_barrier_signal -1
	s_barrier_wait -1
	global_inv scope:SCOPE_SE
	s_cbranch_vccnz .LBB0_11
; %bb.8:
	v_mad_co_u64_u32 v[2:3], null, s8, v8, 0
	v_mul_lo_u32 v17, v7, s2
	s_lshl_b32 s7, s2, 4
	s_lshl_b64 s[4:5], s[10:11], 3
	s_mov_b32 s3, 0
	s_add_nc_u64 s[4:5], s[0:1], s[4:5]
	s_delay_alu instid0(VALU_DEP_2) | instskip(NEXT) | instid1(VALU_DEP_1)
	v_dual_mov_b32 v18, 0 :: v_dual_mov_b32 v1, v3
	v_lshlrev_b64_e32 v[19:20], 3, v[17:18]
	s_delay_alu instid0(VALU_DEP_2) | instskip(SKIP_3) | instid1(VALU_DEP_2)
	v_mad_co_u64_u32 v[3:4], null, s9, v8, v[1:2]
	s_wait_alu 0xfffe
	v_add_nc_u32_e32 v17, s7, v17
	v_mad_u32_u24 v1, 0x208, v8, 0
	v_lshlrev_b64_e32 v[21:22], 3, v[17:18]
	s_delay_alu instid0(VALU_DEP_4) | instskip(SKIP_1) | instid1(VALU_DEP_4)
	v_lshlrev_b64_e32 v[2:3], 3, v[2:3]
	v_add_nc_u32_e32 v17, s7, v17
	v_lshl_add_u32 v4, v7, 3, v1
	ds_load_2addr_b64 v[9:12], v4 offset1:16
	ds_load_2addr_b64 v[13:16], v4 offset0:32 offset1:48
	v_lshlrev_b64_e32 v[23:24], 3, v[17:18]
	v_add_nc_u32_e32 v17, s7, v17
	v_add_co_u32 v5, vcc_lo, s4, v2
	s_wait_alu 0xfffd
	v_add_co_ci_u32_e32 v6, vcc_lo, s5, v3, vcc_lo
	s_delay_alu instid0(VALU_DEP_3) | instskip(NEXT) | instid1(VALU_DEP_3)
	v_lshlrev_b64_e32 v[2:3], 3, v[17:18]
	v_add_co_u32 v17, vcc_lo, v5, v19
	s_wait_alu 0xfffd
	s_delay_alu instid0(VALU_DEP_3)
	v_add_co_ci_u32_e32 v18, vcc_lo, v6, v20, vcc_lo
	v_add_co_u32 v19, vcc_lo, v5, v21
	s_wait_alu 0xfffd
	v_add_co_ci_u32_e32 v20, vcc_lo, v6, v22, vcc_lo
	v_add_co_u32 v21, vcc_lo, v5, v23
	s_wait_alu 0xfffd
	;; [unrolled: 3-line block ×3, first 2 shown]
	v_add_co_ci_u32_e32 v3, vcc_lo, v6, v3, vcc_lo
	s_mov_b32 s5, 0
	s_mov_b32 s4, exec_lo
	s_wait_dscnt 0x1
	s_clause 0x1
	global_store_b64 v[17:18], v[9:10], off
	global_store_b64 v[19:20], v[11:12], off
	s_wait_dscnt 0x0
	s_clause 0x1
	global_store_b64 v[21:22], v[13:14], off
	global_store_b64 v[2:3], v[15:16], off
                                        ; implicit-def: $vgpr2
                                        ; implicit-def: $vgpr3_vgpr4
	v_cmpx_gt_u32_e32 8, v0
	s_cbranch_execz .LBB0_10
; %bb.9:
	ds_load_b64 v[1:2], v1 offset:512
	s_lshl_b32 s14, s2, 6
	s_mov_b32 s15, 0
	s_mov_b32 s5, exec_lo
	s_lshl_b64 s[14:15], s[14:15], 3
	s_delay_alu instid0(SALU_CYCLE_1)
	v_add_co_u32 v3, vcc_lo, v5, s14
	s_wait_alu 0xfffd
	v_add_co_ci_u32_e32 v4, vcc_lo, s15, v6, vcc_lo
	s_wait_dscnt 0x0
	global_store_b32 v[3:4], v1, off
.LBB0_10:
	s_wait_alu 0xfffe
	s_or_b32 exec_lo, exec_lo, s4
	s_delay_alu instid0(SALU_CYCLE_1)
	s_and_b32 vcc_lo, exec_lo, s3
	s_wait_alu 0xfffe
	s_cbranch_vccnz .LBB0_12
	s_branch .LBB0_17
.LBB0_11:
                                        ; implicit-def: $vgpr2
                                        ; implicit-def: $vgpr3_vgpr4
	s_cbranch_execz .LBB0_17
.LBB0_12:
	v_or_b32_e32 v1, s6, v8
	s_mov_b32 s3, exec_lo
                                        ; implicit-def: $vgpr2
                                        ; implicit-def: $vgpr3_vgpr4
	s_delay_alu instid0(VALU_DEP_1)
	v_cmpx_gt_u32_e64 s12, v1
	s_cbranch_execz .LBB0_16
; %bb.13:
	v_mad_co_u64_u32 v[2:3], null, s8, v8, 0
	v_mul_lo_u32 v5, v7, s2
	s_lshl_b32 s2, s2, 4
	s_lshl_b64 s[6:7], s[10:11], 3
	s_and_b32 s4, s12, 7
	s_wait_alu 0xfffe
	s_add_nc_u64 s[0:1], s[0:1], s[6:7]
	s_delay_alu instid0(VALU_DEP_2) | instskip(NEXT) | instid1(VALU_DEP_1)
	v_dual_mov_b32 v6, 0 :: v_dual_mov_b32 v1, v3
	v_lshlrev_b64_e32 v[17:18], 3, v[5:6]
	s_delay_alu instid0(VALU_DEP_2) | instskip(SKIP_2) | instid1(VALU_DEP_2)
	v_mad_co_u64_u32 v[3:4], null, s9, v8, v[1:2]
	v_mad_u32_u24 v1, 0x208, v8, 0
	v_add_nc_u32_e32 v5, s2, v5
	v_lshl_add_u32 v4, v7, 3, v1
	s_delay_alu instid0(VALU_DEP_4) | instskip(NEXT) | instid1(VALU_DEP_3)
	v_lshlrev_b64_e32 v[2:3], 3, v[2:3]
	v_lshlrev_b64_e32 v[19:20], 3, v[5:6]
	v_add_nc_u32_e32 v5, s2, v5
	ds_load_2addr_b64 v[9:12], v4 offset1:16
	ds_load_2addr_b64 v[13:16], v4 offset0:32 offset1:48
	v_add_co_u32 v7, vcc_lo, s0, v2
	s_wait_alu 0xfffd
	v_add_co_ci_u32_e32 v8, vcc_lo, s1, v3, vcc_lo
	v_lshlrev_b64_e32 v[21:22], 3, v[5:6]
	v_add_nc_u32_e32 v5, s2, v5
	v_add_co_u32 v17, vcc_lo, v7, v17
	s_wait_alu 0xfffd
	v_add_co_ci_u32_e32 v18, vcc_lo, v8, v18, vcc_lo
	s_delay_alu instid0(VALU_DEP_3)
	v_lshlrev_b64_e32 v[2:3], 3, v[5:6]
	v_add_co_u32 v19, vcc_lo, v7, v19
	s_wait_alu 0xfffd
	v_add_co_ci_u32_e32 v20, vcc_lo, v8, v20, vcc_lo
	v_add_co_u32 v21, vcc_lo, v7, v21
	s_wait_alu 0xfffd
	v_add_co_ci_u32_e32 v22, vcc_lo, v8, v22, vcc_lo
	;; [unrolled: 3-line block ×3, first 2 shown]
	s_mov_b32 s1, s5
	s_mov_b32 s0, exec_lo
	s_wait_dscnt 0x1
	s_clause 0x1
	global_store_b64 v[17:18], v[9:10], off
	global_store_b64 v[19:20], v[11:12], off
	s_wait_dscnt 0x0
	s_clause 0x1
	global_store_b64 v[21:22], v[13:14], off
	global_store_b64 v[2:3], v[15:16], off
                                        ; implicit-def: $vgpr2
                                        ; implicit-def: $vgpr3_vgpr4
	v_cmpx_gt_u32_e64 s4, v0
	s_cbranch_execz .LBB0_15
; %bb.14:
	ds_load_b64 v[1:2], v1 offset:512
	v_add_nc_u32_e32 v5, s2, v5
	s_or_b32 s1, s5, exec_lo
	s_delay_alu instid0(VALU_DEP_1) | instskip(NEXT) | instid1(VALU_DEP_1)
	v_lshlrev_b64_e32 v[3:4], 3, v[5:6]
	v_add_co_u32 v3, vcc_lo, v7, v3
	s_wait_alu 0xfffd
	s_delay_alu instid0(VALU_DEP_2)
	v_add_co_ci_u32_e32 v4, vcc_lo, v8, v4, vcc_lo
	s_wait_dscnt 0x0
	global_store_b32 v[3:4], v1, off
.LBB0_15:
	s_wait_alu 0xfffe
	s_or_b32 exec_lo, exec_lo, s0
	s_delay_alu instid0(SALU_CYCLE_1)
	s_and_not1_b32 s0, s5, exec_lo
	s_and_b32 s1, s1, exec_lo
	s_wait_alu 0xfffe
	s_or_b32 s5, s0, s1
.LBB0_16:
	s_wait_alu 0xfffe
	s_or_b32 exec_lo, exec_lo, s3
.LBB0_17:
	s_and_saveexec_b32 s0, s5
	s_cbranch_execnz .LBB0_19
; %bb.18:
	s_nop 0
	s_sendmsg sendmsg(MSG_DEALLOC_VGPRS)
	s_endpgm
.LBB0_19:
	global_store_b32 v[3:4], v2, off offset:4
	s_nop 0
	s_sendmsg sendmsg(MSG_DEALLOC_VGPRS)
	s_endpgm
	.section	.rodata,"a",@progbits
	.p2align	6, 0x0
	.amdhsa_kernel fft_rtc_back_len64_factors_4_4_4_wgs_128_tpt_16_sp_op_CI_CI_sbrc_erc_z_xy_unaligned
		.amdhsa_group_segment_fixed_size 0
		.amdhsa_private_segment_fixed_size 0
		.amdhsa_kernarg_size 104
		.amdhsa_user_sgpr_count 2
		.amdhsa_user_sgpr_dispatch_ptr 0
		.amdhsa_user_sgpr_queue_ptr 0
		.amdhsa_user_sgpr_kernarg_segment_ptr 1
		.amdhsa_user_sgpr_dispatch_id 0
		.amdhsa_user_sgpr_private_segment_size 0
		.amdhsa_wavefront_size32 1
		.amdhsa_uses_dynamic_stack 0
		.amdhsa_enable_private_segment 0
		.amdhsa_system_sgpr_workgroup_id_x 1
		.amdhsa_system_sgpr_workgroup_id_y 0
		.amdhsa_system_sgpr_workgroup_id_z 0
		.amdhsa_system_sgpr_workgroup_info 0
		.amdhsa_system_vgpr_workitem_id 0
		.amdhsa_next_free_vgpr 25
		.amdhsa_next_free_sgpr 30
		.amdhsa_reserve_vcc 1
		.amdhsa_float_round_mode_32 0
		.amdhsa_float_round_mode_16_64 0
		.amdhsa_float_denorm_mode_32 3
		.amdhsa_float_denorm_mode_16_64 3
		.amdhsa_fp16_overflow 0
		.amdhsa_workgroup_processor_mode 1
		.amdhsa_memory_ordered 1
		.amdhsa_forward_progress 0
		.amdhsa_round_robin_scheduling 0
		.amdhsa_exception_fp_ieee_invalid_op 0
		.amdhsa_exception_fp_denorm_src 0
		.amdhsa_exception_fp_ieee_div_zero 0
		.amdhsa_exception_fp_ieee_overflow 0
		.amdhsa_exception_fp_ieee_underflow 0
		.amdhsa_exception_fp_ieee_inexact 0
		.amdhsa_exception_int_div_zero 0
	.end_amdhsa_kernel
	.text
.Lfunc_end0:
	.size	fft_rtc_back_len64_factors_4_4_4_wgs_128_tpt_16_sp_op_CI_CI_sbrc_erc_z_xy_unaligned, .Lfunc_end0-fft_rtc_back_len64_factors_4_4_4_wgs_128_tpt_16_sp_op_CI_CI_sbrc_erc_z_xy_unaligned
                                        ; -- End function
	.section	.AMDGPU.csdata,"",@progbits
; Kernel info:
; codeLenInByte = 2944
; NumSgprs: 32
; NumVgprs: 25
; ScratchSize: 0
; MemoryBound: 0
; FloatMode: 240
; IeeeMode: 1
; LDSByteSize: 0 bytes/workgroup (compile time only)
; SGPRBlocks: 3
; VGPRBlocks: 3
; NumSGPRsForWavesPerEU: 32
; NumVGPRsForWavesPerEU: 25
; Occupancy: 16
; WaveLimiterHint : 1
; COMPUTE_PGM_RSRC2:SCRATCH_EN: 0
; COMPUTE_PGM_RSRC2:USER_SGPR: 2
; COMPUTE_PGM_RSRC2:TRAP_HANDLER: 0
; COMPUTE_PGM_RSRC2:TGID_X_EN: 1
; COMPUTE_PGM_RSRC2:TGID_Y_EN: 0
; COMPUTE_PGM_RSRC2:TGID_Z_EN: 0
; COMPUTE_PGM_RSRC2:TIDIG_COMP_CNT: 0
	.text
	.p2alignl 7, 3214868480
	.fill 96, 4, 3214868480
	.type	__hip_cuid_195cf4a743b0424,@object ; @__hip_cuid_195cf4a743b0424
	.section	.bss,"aw",@nobits
	.globl	__hip_cuid_195cf4a743b0424
__hip_cuid_195cf4a743b0424:
	.byte	0                               ; 0x0
	.size	__hip_cuid_195cf4a743b0424, 1

	.ident	"AMD clang version 19.0.0git (https://github.com/RadeonOpenCompute/llvm-project roc-6.4.0 25133 c7fe45cf4b819c5991fe208aaa96edf142730f1d)"
	.section	".note.GNU-stack","",@progbits
	.addrsig
	.addrsig_sym __hip_cuid_195cf4a743b0424
	.amdgpu_metadata
---
amdhsa.kernels:
  - .args:
      - .actual_access:  read_only
        .address_space:  global
        .offset:         0
        .size:           8
        .value_kind:     global_buffer
      - .offset:         8
        .size:           8
        .value_kind:     by_value
      - .actual_access:  read_only
        .address_space:  global
        .offset:         16
        .size:           8
        .value_kind:     global_buffer
      - .actual_access:  read_only
        .address_space:  global
        .offset:         24
        .size:           8
        .value_kind:     global_buffer
      - .actual_access:  read_only
        .address_space:  global
        .offset:         32
        .size:           8
        .value_kind:     global_buffer
      - .offset:         40
        .size:           8
        .value_kind:     by_value
      - .actual_access:  read_only
        .address_space:  global
        .offset:         48
        .size:           8
        .value_kind:     global_buffer
      - .actual_access:  read_only
        .address_space:  global
        .offset:         56
        .size:           8
        .value_kind:     global_buffer
      - .offset:         64
        .size:           4
        .value_kind:     by_value
      - .actual_access:  read_only
        .address_space:  global
        .offset:         72
        .size:           8
        .value_kind:     global_buffer
      - .actual_access:  read_only
        .address_space:  global
        .offset:         80
        .size:           8
        .value_kind:     global_buffer
      - .actual_access:  read_only
        .address_space:  global
        .offset:         88
        .size:           8
        .value_kind:     global_buffer
      - .actual_access:  write_only
        .address_space:  global
        .offset:         96
        .size:           8
        .value_kind:     global_buffer
    .group_segment_fixed_size: 0
    .kernarg_segment_align: 8
    .kernarg_segment_size: 104
    .language:       OpenCL C
    .language_version:
      - 2
      - 0
    .max_flat_workgroup_size: 128
    .name:           fft_rtc_back_len64_factors_4_4_4_wgs_128_tpt_16_sp_op_CI_CI_sbrc_erc_z_xy_unaligned
    .private_segment_fixed_size: 0
    .sgpr_count:     32
    .sgpr_spill_count: 0
    .symbol:         fft_rtc_back_len64_factors_4_4_4_wgs_128_tpt_16_sp_op_CI_CI_sbrc_erc_z_xy_unaligned.kd
    .uniform_work_group_size: 1
    .uses_dynamic_stack: false
    .vgpr_count:     25
    .vgpr_spill_count: 0
    .wavefront_size: 32
    .workgroup_processor_mode: 1
amdhsa.target:   amdgcn-amd-amdhsa--gfx1201
amdhsa.version:
  - 1
  - 2
...

	.end_amdgpu_metadata
